;; amdgpu-corpus repo=zjin-lcf/HeCBench kind=compiled arch=gfx1030 opt=O3
	.amdgcn_target "amdgcn-amd-amdhsa--gfx1030"
	.amdhsa_code_object_version 6
	.section	.text._Z17fused_4bit_kernelIfLi64EEvPT_PKS0_S1_S1_PaS4_fffffflffffff,"axG",@progbits,_Z17fused_4bit_kernelIfLi64EEvPT_PKS0_S1_S1_PaS4_fffffflffffff,comdat
	.protected	_Z17fused_4bit_kernelIfLi64EEvPT_PKS0_S1_S1_PaS4_fffffflffffff ; -- Begin function _Z17fused_4bit_kernelIfLi64EEvPT_PKS0_S1_S1_PaS4_fffffflffffff
	.globl	_Z17fused_4bit_kernelIfLi64EEvPT_PKS0_S1_S1_PaS4_fffffflffffff
	.p2align	8
	.type	_Z17fused_4bit_kernelIfLi64EEvPT_PKS0_S1_S1_PaS4_fffffflffffff,@function
_Z17fused_4bit_kernelIfLi64EEvPT_PKS0_S1_S1_PaS4_fffffflffffff: ; @_Z17fused_4bit_kernelIfLi64EEvPT_PKS0_S1_S1_PaS4_fffffflffffff
; %bb.0:
	s_clause 0x1
	s_load_dword s2, s[4:5], 0x74
	s_load_dwordx2 s[0:1], s[4:5], 0x48
	s_waitcnt lgkmcnt(0)
	s_and_b32 s2, s2, 0xffff
	v_mad_u64_u32 v[5:6], null, s6, s2, v[0:1]
	v_mov_b32_e32 v6, 0
	v_cmp_gt_i64_e32 vcc_lo, s[0:1], v[5:6]
	s_and_saveexec_b32 s0, vcc_lo
	s_cbranch_execz .LBB0_32
; %bb.1:
	s_clause 0x2
	s_load_dwordx4 s[0:3], s[4:5], 0x20
	s_load_dwordx2 s[16:17], s[4:5], 0x30
	s_load_dwordx8 s[8:15], s[4:5], 0x0
	v_lshlrev_b64 v[7:8], 3, v[5:6]
	v_mov_b32_e32 v15, 2
	s_mov_b32 s7, 0
	s_waitcnt lgkmcnt(0)
	v_add_co_u32 v1, s2, s2, v5
	v_add_co_ci_u32_e64 v2, null, s3, 0, s2
	v_add_co_u32 v3, s0, s0, v5
	v_add_co_ci_u32_e64 v4, null, s1, 0, s0
	global_load_ubyte v13, v[1:2], off
	s_lshl_b64 s[0:1], s[6:7], 2
	global_load_ubyte v14, v[3:4], off
	s_add_u32 s2, s12, s0
	s_addc_u32 s3, s13, s1
	s_getpc_b64 s[6:7]
	s_add_u32 s6, s6, _ZL8_sq_qmap@rel32@lo+4
	s_addc_u32 s7, s7, _ZL8_sq_qmap@rel32@hi+12
	s_waitcnt vmcnt(1)
	v_and_b32_e32 v9, 15, v13
	v_lshlrev_b32_sdwa v5, v15, v9 dst_sel:DWORD dst_unused:UNUSED_PAD src0_sel:DWORD src1_sel:WORD_0
	v_add_co_u32 v9, vcc_lo, s10, v7
	v_add_co_ci_u32_e64 v10, null, s11, v8, vcc_lo
	global_load_dword v5, v5, s[6:7]
	global_load_dwordx2 v[11:12], v[9:10], off
	v_lshrrev_b16 v9, 4, v13
	v_add_co_u32 v13, vcc_lo, s8, v7
	v_lshlrev_b32_sdwa v9, v15, v9 dst_sel:DWORD dst_unused:UNUSED_PAD src0_sel:DWORD src1_sel:WORD_0
	global_load_dword v10, v9, s[6:7]
	s_waitcnt vmcnt(3)
	v_and_b32_e32 v9, 15, v14
	s_getpc_b64 s[6:7]
	s_add_u32 s6, s6, _ZL9_exp_qmap@rel32@lo+4
	s_addc_u32 s7, s7, _ZL9_exp_qmap@rel32@hi+12
	v_lshlrev_b32_sdwa v9, v15, v9 dst_sel:DWORD dst_unused:UNUSED_PAD src0_sel:DWORD src1_sel:WORD_0
	global_load_dword v17, v9, s[6:7]
	v_lshrrev_b16 v9, 4, v14
	v_add_co_ci_u32_e64 v14, null, s9, v8, vcc_lo
	s_load_dwordx4 s[8:11], s[4:5], 0x54
	v_lshlrev_b32_sdwa v9, v15, v9 dst_sel:DWORD dst_unused:UNUSED_PAD src0_sel:DWORD src1_sel:WORD_0
	global_load_dwordx2 v[15:16], v[13:14], off
	global_load_dword v18, v9, s[6:7]
	s_add_u32 s6, s14, s0
	s_addc_u32 s7, s15, s1
	s_load_dword s1, s[6:7], 0x0
	s_clause 0x1
	s_load_dword s12, s[4:5], 0x64
	s_load_dword s4, s[4:5], 0x40
	s_waitcnt vmcnt(5) lgkmcnt(0)
	v_mul_f32_e32 v5, s1, v5
	s_waitcnt vmcnt(4)
	v_mul_f32_e32 v7, v11, v11
	v_mul_f32_e32 v9, s17, v5
	v_fmac_f32_e32 v9, s12, v7
	v_mul_f32_e32 v5, 0x4f800000, v9
	v_cmp_gt_f32_e32 vcc_lo, 0xf800000, v9
	v_cndmask_b32_e32 v5, v9, v5, vcc_lo
	v_sqrt_f32_e32 v7, v5
	v_add_nc_u32_e32 v8, -1, v7
	v_add_nc_u32_e32 v19, 1, v7
	v_fma_f32 v20, -v8, v7, v5
	v_fma_f32 v21, -v19, v7, v5
	v_cmp_ge_f32_e64 s0, 0, v20
	v_cndmask_b32_e64 v7, v7, v8, s0
	v_cmp_lt_f32_e64 s0, 0, v21
	v_cndmask_b32_e64 v7, v7, v19, s0
	v_mul_f32_e32 v8, 0x37800000, v7
	v_cndmask_b32_e32 v7, v7, v8, vcc_lo
	s_waitcnt vmcnt(3)
	v_mul_f32_e32 v8, s1, v10
	v_cmp_class_f32_e64 vcc_lo, v5, 0x260
	v_mul_f32_e32 v10, v12, v12
	v_cndmask_b32_e32 v5, v7, v5, vcc_lo
	v_mul_f32_e32 v7, s17, v8
	v_div_scale_f32 v8, null, s8, s8, v5
	v_fmac_f32_e32 v7, s12, v10
	v_div_scale_f32 v22, vcc_lo, v5, s8, v5
	v_rcp_f32_e32 v10, v8
	s_load_dword s12, s[2:3], 0x0
	v_mul_f32_e32 v19, 0x4f800000, v7
	v_cmp_gt_f32_e64 s0, 0xf800000, v7
	v_cndmask_b32_e64 v19, v7, v19, s0
	v_fma_f32 v20, -v8, v10, 1.0
	v_sqrt_f32_e32 v21, v19
	v_fmac_f32_e32 v10, v20, v10
	v_mul_f32_e32 v20, v22, v10
	s_waitcnt vmcnt(2) lgkmcnt(0)
	v_mul_f32_e32 v17, s12, v17
	s_waitcnt vmcnt(0)
	v_mul_f32_e32 v18, s12, v18
	v_add_nc_u32_e32 v23, -1, v21
	v_add_nc_u32_e32 v24, 1, v21
	v_fma_f32 v25, -v8, v20, v22
	v_fma_f32 v26, -v23, v21, v19
	;; [unrolled: 1-line block ×3, first 2 shown]
	v_fmac_f32_e32 v20, v25, v10
	v_cmp_ge_f32_e64 s1, 0, v26
	v_fma_f32 v8, -v8, v20, v22
	v_cndmask_b32_e64 v21, v21, v23, s1
	v_cmp_lt_f32_e64 s1, 0, v27
	v_div_fmas_f32 v8, v8, v10, v20
	v_mul_f32_e32 v10, s16, v17
	v_cmp_class_f32_e64 vcc_lo, v19, 0x260
	v_cndmask_b32_e64 v21, v21, v24, s1
	v_div_fixup_f32 v5, v8, s8, v5
	v_fmac_f32_e32 v10, s11, v11
	v_mul_f32_e32 v20, 0x37800000, v21
	v_add_f32_e32 v11, s4, v5
	v_cndmask_b32_e64 v8, v21, v20, s0
	v_div_scale_f32 v17, null, v11, v11, v10
	v_cndmask_b32_e32 v5, v8, v19, vcc_lo
	v_rcp_f32_e32 v20, v17
	v_div_scale_f32 v23, vcc_lo, v10, v11, v10
	v_div_scale_f32 v19, null, s8, s8, v5
	v_div_scale_f32 v24, s0, v5, s8, v5
	v_rcp_f32_e32 v21, v19
	v_fma_f32 v8, -v17, v20, 1.0
	v_fmac_f32_e32 v20, v8, v20
	v_mul_f32_e32 v8, s16, v18
	v_fma_f32 v22, -v19, v21, 1.0
	v_fmac_f32_e32 v8, s11, v12
	v_fmac_f32_e32 v21, v22, v21
	v_mul_f32_e32 v22, v23, v20
	v_mul_f32_e32 v18, v24, v21
	v_fma_f32 v25, -v17, v22, v23
	v_fma_f32 v12, -v19, v18, v24
	v_fmac_f32_e32 v22, v25, v20
	v_max_f32_e32 v25, v10, v8
	v_fmac_f32_e32 v18, v12, v21
	v_fma_f32 v12, -v17, v22, v23
	v_mov_b32_dpp v17, v25 quad_perm:[1,0,3,2] row_mask:0xf bank_mask:0xf
	v_fma_f32 v19, -v19, v18, v24
	v_div_fmas_f32 v12, v12, v20, v22
	s_mov_b32 vcc_lo, s0
	v_div_fmas_f32 v18, v19, v21, v18
	v_cmp_gt_f32_e32 vcc_lo, v25, v17
	v_div_fixup_f32 v5, v18, s8, v5
	v_cndmask_b32_e32 v17, v17, v25, vcc_lo
	v_add_f32_e32 v19, s4, v5
	v_mov_b32_dpp v18, v17 quad_perm:[2,3,0,1] row_mask:0xf bank_mask:0xf
	v_cmp_gt_f32_e32 vcc_lo, v17, v18
	v_cndmask_b32_e32 v5, v18, v17, vcc_lo
	v_div_scale_f32 v17, null, v19, v19, v8
	v_mov_b32_dpp v18, v5 row_ror:4 row_mask:0xf bank_mask:0xf
	v_rcp_f32_e32 v20, v17
	v_cmp_gt_f32_e32 vcc_lo, v5, v18
	v_cndmask_b32_e32 v5, v18, v5, vcc_lo
	v_fma_f32 v21, -v17, v20, 1.0
	v_mov_b32_dpp v18, v5 row_ror:8 row_mask:0xf bank_mask:0xf
	v_fmac_f32_e32 v20, v21, v20
	v_cmp_gt_f32_e32 vcc_lo, v5, v18
	v_cndmask_b32_e32 v5, v18, v5, vcc_lo
	v_div_scale_f32 v18, vcc_lo, v8, v19, v8
	ds_swizzle_b32 v21, v5 offset:swizzle(BROADCAST,32,15)
	v_mul_f32_e32 v22, v18, v20
	v_fma_f32 v23, -v17, v22, v18
	v_fmac_f32_e32 v22, v23, v20
	v_fma_f32 v17, -v17, v22, v18
	s_waitcnt lgkmcnt(0)
	v_cmp_gt_f32_e64 s0, v5, v21
	v_div_fmas_f32 v17, v17, v20, v22
	v_cndmask_b32_e64 v5, v21, v5, s0
	ds_bpermute_b32 v5, v6, v5 offset:124
	v_div_fixup_f32 v6, v12, v11, v10
	v_div_fixup_f32 v11, v17, v19, v8
	v_mbcnt_lo_u32_b32 v12, -1, 0
	v_mul_f32_e32 v6, s9, v6
	v_mul_f32_e32 v11, s9, v11
	v_cmp_eq_u32_e32 vcc_lo, 0, v12
	v_fma_f32 v15, s10, v15, -v6
	v_fma_f32 v16, s10, v16, -v11
	v_lshrrev_b32_e32 v11, 3, v0
	global_store_dwordx2 v[13:14], v[15:16], off
	s_and_saveexec_b32 s0, vcc_lo
	s_cbranch_execz .LBB0_3
; %bb.2:
	v_and_b32_e32 v6, 0x7c, v11
	s_waitcnt lgkmcnt(0)
	ds_write_b32 v6, v5
.LBB0_3:
	s_or_b32 exec_lo, exec_lo, s0
	v_lshlrev_b32_e32 v14, 2, v12
	v_mov_b32_e32 v6, 0x7c
	v_cmp_gt_u32_e64 s0, 32, v0
	v_and_b32_e32 v13, 1, v12
	s_waitcnt lgkmcnt(0)
	s_waitcnt_vscnt null, 0x0
	v_or_b32_e32 v12, 4, v14
	s_barrier
	buffer_gl0_inv
	s_and_saveexec_b32 s4, s0
	s_cbranch_execz .LBB0_5
; %bb.4:
	v_lshlrev_b32_e32 v5, 2, v13
	ds_read_b32 v5, v5
	s_waitcnt lgkmcnt(0)
	ds_bpermute_b32 v14, v12, v5
	s_waitcnt lgkmcnt(0)
	v_cmp_lt_f32_e64 s1, v5, v14
	v_cndmask_b32_e64 v5, v5, v14, s1
.LBB0_5:
	s_or_b32 exec_lo, exec_lo, s4
	v_max_f32_e32 v14, v7, v7
	v_max_f32_e32 v15, v9, v9
	;; [unrolled: 1-line block ×3, first 2 shown]
	v_mov_b32_dpp v15, v14 quad_perm:[1,0,3,2] row_mask:0xf bank_mask:0xf
	v_cmp_gt_f32_e64 s1, v14, v15
	v_cndmask_b32_e64 v14, v15, v14, s1
	v_mov_b32_dpp v15, v14 quad_perm:[2,3,0,1] row_mask:0xf bank_mask:0xf
	v_cmp_gt_f32_e64 s1, v14, v15
	v_cndmask_b32_e64 v14, v15, v14, s1
	v_mov_b32_dpp v15, v14 row_ror:4 row_mask:0xf bank_mask:0xf
	v_cmp_gt_f32_e64 s1, v14, v15
	v_cndmask_b32_e64 v14, v15, v14, s1
	v_mov_b32_dpp v15, v14 row_ror:8 row_mask:0xf bank_mask:0xf
	v_cmp_gt_f32_e64 s1, v14, v15
	v_cndmask_b32_e64 v14, v15, v14, s1
	ds_swizzle_b32 v15, v14 offset:swizzle(BROADCAST,32,15)
	s_waitcnt lgkmcnt(0)
	v_cmp_gt_f32_e64 s1, v14, v15
	v_cndmask_b32_e64 v14, v15, v14, s1
	ds_bpermute_b32 v6, v6, v14
	s_and_saveexec_b32 s1, vcc_lo
	s_cbranch_execz .LBB0_7
; %bb.6:
	v_and_b32_e32 v11, 0x7c, v11
	s_waitcnt lgkmcnt(0)
	ds_write_b32 v11, v6 offset:8
.LBB0_7:
	s_or_b32 exec_lo, exec_lo, s1
	s_waitcnt lgkmcnt(0)
	s_barrier
	buffer_gl0_inv
	s_and_saveexec_b32 s1, s0
	s_cbranch_execz .LBB0_9
; %bb.8:
	v_lshlrev_b32_e32 v6, 2, v13
	ds_read_b32 v6, v6 offset:8
	s_waitcnt lgkmcnt(0)
	ds_bpermute_b32 v11, v12, v6
	s_waitcnt lgkmcnt(0)
	v_cmp_lt_f32_e32 vcc_lo, v6, v11
	v_cndmask_b32_e32 v6, v6, v11, vcc_lo
.LBB0_9:
	s_or_b32 exec_lo, exec_lo, s1
	s_mov_b32 s0, exec_lo
	v_cmpx_eq_u32_e32 0, v0
	s_cbranch_execz .LBB0_11
; %bb.10:
	v_mov_b32_e32 v0, 0
	global_store_dword v0, v5, s[2:3]
	global_store_dword v0, v6, s[6:7]
	ds_write_b64 v0, v[5:6] offset:16
.LBB0_11:
	s_or_b32 exec_lo, exec_lo, s0
	v_mov_b32_e32 v0, 0
	s_waitcnt lgkmcnt(0)
	s_waitcnt_vscnt null, 0x0
	s_barrier
	buffer_gl0_inv
	s_mov_b32 s0, exec_lo
	ds_read_b32 v11, v0 offset:16
	s_waitcnt lgkmcnt(0)
	v_div_scale_f32 v5, null, v11, v11, v10
	v_div_scale_f32 v13, vcc_lo, v10, v11, v10
	v_rcp_f32_e32 v6, v5
	v_fma_f32 v12, -v5, v6, 1.0
	v_fmac_f32_e32 v6, v12, v6
	v_mul_f32_e32 v12, v13, v6
	v_fma_f32 v14, -v5, v12, v13
	v_fmac_f32_e32 v12, v14, v6
	v_fma_f32 v5, -v5, v12, v13
	v_div_fmas_f32 v5, v5, v6, v12
	v_div_fixup_f32 v12, v5, v11, v10
	v_mov_b32_e32 v10, 0
	v_cmpx_nge_f32_e32 0xbf633333, v12
	s_cbranch_execz .LBB0_17
; %bb.12:
	v_mov_b32_e32 v10, 15
	s_mov_b32 s1, exec_lo
	v_cmpx_nle_f32_e32 1.0, v12
	s_cbranch_execz .LBB0_16
; %bb.13:
	v_mov_b32_e32 v13, 15
	v_mov_b32_e32 v6, 0
	;; [unrolled: 1-line block ×3, first 2 shown]
	s_mov_b32 s2, 0
	s_getpc_b64 s[4:5]
	s_add_u32 s4, s4, _ZL9_exp_qmap@rel32@lo+4
	s_addc_u32 s5, s5, _ZL9_exp_qmap@rel32@hi+12
	.p2align	6
.LBB0_14:                               ; =>This Inner Loop Header: Depth=1
	v_add_nc_u32_e32 v5, v10, v13
	v_lshrrev_b32_e32 v5, 1, v5
	v_lshlrev_b64 v[14:15], 2, v[5:6]
	v_add_co_u32 v14, vcc_lo, s4, v14
	v_add_co_ci_u32_e64 v15, null, s5, v15, vcc_lo
	global_load_dword v14, v[14:15], off
	v_add_nc_u32_e32 v15, 1, v5
	s_waitcnt vmcnt(0)
	v_cmp_nle_f32_e32 vcc_lo, v14, v12
	v_cndmask_b32_e32 v10, v15, v10, vcc_lo
	v_cndmask_b32_e32 v13, v13, v5, vcc_lo
	v_cmp_ge_i32_e32 vcc_lo, v10, v13
	s_or_b32 s2, vcc_lo, s2
	s_andn2_b32 exec_lo, exec_lo, s2
	s_cbranch_execnz .LBB0_14
; %bb.15:
	s_or_b32 exec_lo, exec_lo, s2
	v_add_nc_u32_e32 v5, -1, v10
	s_getpc_b64 s[2:3]
	s_add_u32 s2, s2, _ZL11_exp_qmidpt@rel32@lo+4
	s_addc_u32 s3, s3, _ZL11_exp_qmidpt@rel32@hi+12
	v_ashrrev_i32_e32 v6, 31, v5
	v_lshlrev_b64 v[13:14], 2, v[5:6]
	v_add_co_u32 v13, vcc_lo, s2, v13
	v_add_co_ci_u32_e64 v14, null, s3, v14, vcc_lo
	global_load_dword v6, v[13:14], off
	s_waitcnt vmcnt(0)
	v_cmp_lt_f32_e32 vcc_lo, v6, v12
	v_cndmask_b32_e32 v5, v5, v10, vcc_lo
	v_and_b32_e32 v10, 15, v5
.LBB0_16:
	s_or_b32 exec_lo, exec_lo, s1
.LBB0_17:
	s_or_b32 exec_lo, exec_lo, s0
	ds_read_b32 v12, v0 offset:20
	s_mov_b32 s0, exec_lo
	s_waitcnt lgkmcnt(0)
	v_div_scale_f32 v5, null, v12, v12, v9
	v_rcp_f32_e32 v6, v5
	v_fma_f32 v13, -v5, v6, 1.0
	v_fmac_f32_e32 v6, v13, v6
	v_div_scale_f32 v13, vcc_lo, v9, v12, v9
	v_mul_f32_e32 v14, v13, v6
	v_fma_f32 v15, -v5, v14, v13
	v_fmac_f32_e32 v14, v15, v6
	v_fma_f32 v5, -v5, v14, v13
	v_div_fmas_f32 v5, v5, v6, v14
	v_div_fixup_f32 v9, v5, v12, v9
	v_cmpx_nge_f32_e32 0x3d800000, v9
	s_cbranch_execz .LBB0_23
; %bb.18:
	v_mov_b32_e32 v0, 15
	s_mov_b32 s1, exec_lo
	v_cmpx_nle_f32_e32 1.0, v9
	s_cbranch_execz .LBB0_22
; %bb.19:
	v_mov_b32_e32 v13, 15
	v_mov_b32_e32 v6, 0
	;; [unrolled: 1-line block ×3, first 2 shown]
	s_mov_b32 s2, 0
	s_getpc_b64 s[4:5]
	s_add_u32 s4, s4, _ZL8_sq_qmap@rel32@lo+4
	s_addc_u32 s5, s5, _ZL8_sq_qmap@rel32@hi+12
	.p2align	6
.LBB0_20:                               ; =>This Inner Loop Header: Depth=1
	v_add_nc_u32_e32 v5, v0, v13
	v_lshrrev_b32_e32 v5, 1, v5
	v_lshlrev_b64 v[14:15], 2, v[5:6]
	v_add_co_u32 v14, vcc_lo, s4, v14
	v_add_co_ci_u32_e64 v15, null, s5, v15, vcc_lo
	global_load_dword v14, v[14:15], off
	v_add_nc_u32_e32 v15, 1, v5
	s_waitcnt vmcnt(0)
	v_cmp_nle_f32_e32 vcc_lo, v14, v9
	v_cndmask_b32_e32 v0, v15, v0, vcc_lo
	v_cndmask_b32_e32 v13, v13, v5, vcc_lo
	v_cmp_ge_i32_e32 vcc_lo, v0, v13
	s_or_b32 s2, vcc_lo, s2
	s_andn2_b32 exec_lo, exec_lo, s2
	s_cbranch_execnz .LBB0_20
; %bb.21:
	s_or_b32 exec_lo, exec_lo, s2
	v_add_nc_u32_e32 v5, -1, v0
	s_getpc_b64 s[2:3]
	s_add_u32 s2, s2, _ZL10_sq_qmidpt@rel32@lo+4
	s_addc_u32 s3, s3, _ZL10_sq_qmidpt@rel32@hi+12
	v_ashrrev_i32_e32 v6, 31, v5
	v_lshlrev_b64 v[13:14], 2, v[5:6]
	v_add_co_u32 v13, vcc_lo, s2, v13
	v_add_co_ci_u32_e64 v14, null, s3, v14, vcc_lo
	global_load_dword v6, v[13:14], off
	s_waitcnt vmcnt(0)
	v_cmp_lt_f32_e32 vcc_lo, v6, v9
	v_cndmask_b32_e32 v0, v5, v0, vcc_lo
	v_and_b32_e32 v0, 15, v0
.LBB0_22:
	s_or_b32 exec_lo, exec_lo, s1
.LBB0_23:
	s_or_b32 exec_lo, exec_lo, s0
	v_div_scale_f32 v5, null, v11, v11, v8
	v_div_scale_f32 v13, vcc_lo, v8, v11, v8
	v_rcp_f32_e32 v6, v5
	v_fma_f32 v9, -v5, v6, 1.0
	v_fmac_f32_e32 v6, v9, v6
	v_mul_f32_e32 v9, v13, v6
	v_fma_f32 v14, -v5, v9, v13
	v_fmac_f32_e32 v9, v14, v6
	v_fma_f32 v5, -v5, v9, v13
	v_div_fmas_f32 v5, v5, v6, v9
	v_div_fixup_f32 v9, v5, v11, v8
	v_mov_b32_e32 v8, 0
	v_cmp_nge_f32_e32 vcc_lo, 0xbf633333, v9
	v_cmp_nle_f32_e64 s0, 1.0, v9
	s_and_b32 s1, vcc_lo, s0
	s_and_saveexec_b32 s0, s1
	s_cbranch_execz .LBB0_27
; %bb.24:
	v_mov_b32_e32 v11, 15
	v_mov_b32_e32 v6, 0
	v_mov_b32_e32 v8, 0
	s_mov_b32 s1, 0
	s_getpc_b64 s[2:3]
	s_add_u32 s2, s2, _ZL9_exp_qmap@rel32@lo+4
	s_addc_u32 s3, s3, _ZL9_exp_qmap@rel32@hi+12
	.p2align	6
.LBB0_25:                               ; =>This Inner Loop Header: Depth=1
	v_add_nc_u32_e32 v5, v8, v11
	v_lshrrev_b32_e32 v5, 1, v5
	v_lshlrev_b64 v[13:14], 2, v[5:6]
	v_add_co_u32 v13, vcc_lo, s2, v13
	v_add_co_ci_u32_e64 v14, null, s3, v14, vcc_lo
	global_load_dword v13, v[13:14], off
	v_add_nc_u32_e32 v14, 1, v5
	s_waitcnt vmcnt(0)
	v_cmp_nle_f32_e32 vcc_lo, v13, v9
	v_cndmask_b32_e32 v8, v14, v8, vcc_lo
	v_cndmask_b32_e32 v11, v11, v5, vcc_lo
	v_cmp_ge_i32_e32 vcc_lo, v8, v11
	s_or_b32 s1, vcc_lo, s1
	s_andn2_b32 exec_lo, exec_lo, s1
	s_cbranch_execnz .LBB0_25
; %bb.26:
	s_or_b32 exec_lo, exec_lo, s1
	v_add_nc_u32_e32 v5, -1, v8
	s_getpc_b64 s[2:3]
	s_add_u32 s2, s2, _ZL11_exp_qmidpt@rel32@lo+4
	s_addc_u32 s3, s3, _ZL11_exp_qmidpt@rel32@hi+12
	v_ashrrev_i32_e32 v6, 31, v5
	v_lshlrev_b64 v[13:14], 2, v[5:6]
	v_add_co_u32 v13, vcc_lo, s2, v13
	v_add_co_ci_u32_e64 v14, null, s3, v14, vcc_lo
	global_load_dword v6, v[13:14], off
	s_waitcnt vmcnt(0)
	v_cmp_lt_f32_e32 vcc_lo, v6, v9
	v_cndmask_b32_e32 v5, v5, v8, vcc_lo
	v_and_b32_e32 v8, 0xf0, v5
.LBB0_27:
	s_or_b32 exec_lo, exec_lo, s0
	v_div_scale_f32 v5, null, v12, v12, v7
	v_div_scale_f32 v11, vcc_lo, v7, v12, v7
	v_rcp_f32_e32 v6, v5
	v_fma_f32 v9, -v5, v6, 1.0
	v_fmac_f32_e32 v6, v9, v6
	v_mul_f32_e32 v9, v11, v6
	v_fma_f32 v13, -v5, v9, v11
	v_fmac_f32_e32 v9, v13, v6
	v_fma_f32 v5, -v5, v9, v11
	v_div_fmas_f32 v5, v5, v6, v9
	v_div_fixup_f32 v7, v5, v12, v7
	v_mov_b32_e32 v5, 0
	v_cmp_nge_f32_e32 vcc_lo, 0x3d800000, v7
	v_cmp_nle_f32_e64 s0, 1.0, v7
	s_and_b32 s1, vcc_lo, s0
	s_and_saveexec_b32 s0, s1
	s_cbranch_execz .LBB0_31
; %bb.28:
	v_mov_b32_e32 v11, 15
	v_mov_b32_e32 v6, 0
	;; [unrolled: 1-line block ×3, first 2 shown]
	s_mov_b32 s1, 0
	s_getpc_b64 s[2:3]
	s_add_u32 s2, s2, _ZL8_sq_qmap@rel32@lo+4
	s_addc_u32 s3, s3, _ZL8_sq_qmap@rel32@hi+12
	.p2align	6
.LBB0_29:                               ; =>This Inner Loop Header: Depth=1
	v_add_nc_u32_e32 v5, v9, v11
	v_lshrrev_b32_e32 v5, 1, v5
	v_lshlrev_b64 v[12:13], 2, v[5:6]
	v_add_co_u32 v12, vcc_lo, s2, v12
	v_add_co_ci_u32_e64 v13, null, s3, v13, vcc_lo
	global_load_dword v12, v[12:13], off
	v_add_nc_u32_e32 v13, 1, v5
	s_waitcnt vmcnt(0)
	v_cmp_nle_f32_e32 vcc_lo, v12, v7
	v_cndmask_b32_e32 v9, v13, v9, vcc_lo
	v_cndmask_b32_e32 v11, v11, v5, vcc_lo
	v_cmp_ge_i32_e32 vcc_lo, v9, v11
	s_or_b32 s1, vcc_lo, s1
	s_andn2_b32 exec_lo, exec_lo, s1
	s_cbranch_execnz .LBB0_29
; %bb.30:
	s_or_b32 exec_lo, exec_lo, s1
	v_add_nc_u32_e32 v5, -1, v9
	s_getpc_b64 s[2:3]
	s_add_u32 s2, s2, _ZL10_sq_qmidpt@rel32@lo+4
	s_addc_u32 s3, s3, _ZL10_sq_qmidpt@rel32@hi+12
	v_ashrrev_i32_e32 v6, 31, v5
	v_lshlrev_b64 v[11:12], 2, v[5:6]
	v_add_co_u32 v11, vcc_lo, s2, v11
	v_add_co_ci_u32_e64 v12, null, s3, v12, vcc_lo
	global_load_dword v6, v[11:12], off
	s_waitcnt vmcnt(0)
	v_cmp_lt_f32_e32 vcc_lo, v6, v7
	v_cndmask_b32_e32 v5, v5, v9, vcc_lo
	v_and_b32_e32 v5, 0xf0, v5
.LBB0_31:
	s_or_b32 exec_lo, exec_lo, s0
	v_or_b32_e32 v6, v8, v10
	v_or_b32_e32 v0, v5, v0
	global_store_byte v[3:4], v6, off
	global_store_byte v[1:2], v0, off
.LBB0_32:
	s_endpgm
	.section	.rodata,"a",@progbits
	.p2align	6, 0x0
	.amdhsa_kernel _Z17fused_4bit_kernelIfLi64EEvPT_PKS0_S1_S1_PaS4_fffffflffffff
		.amdhsa_group_segment_fixed_size 24
		.amdhsa_private_segment_fixed_size 0
		.amdhsa_kernarg_size 360
		.amdhsa_user_sgpr_count 6
		.amdhsa_user_sgpr_private_segment_buffer 1
		.amdhsa_user_sgpr_dispatch_ptr 0
		.amdhsa_user_sgpr_queue_ptr 0
		.amdhsa_user_sgpr_kernarg_segment_ptr 1
		.amdhsa_user_sgpr_dispatch_id 0
		.amdhsa_user_sgpr_flat_scratch_init 0
		.amdhsa_user_sgpr_private_segment_size 0
		.amdhsa_wavefront_size32 1
		.amdhsa_uses_dynamic_stack 0
		.amdhsa_system_sgpr_private_segment_wavefront_offset 0
		.amdhsa_system_sgpr_workgroup_id_x 1
		.amdhsa_system_sgpr_workgroup_id_y 0
		.amdhsa_system_sgpr_workgroup_id_z 0
		.amdhsa_system_sgpr_workgroup_info 0
		.amdhsa_system_vgpr_workitem_id 0
		.amdhsa_next_free_vgpr 28
		.amdhsa_next_free_sgpr 18
		.amdhsa_reserve_vcc 1
		.amdhsa_reserve_flat_scratch 0
		.amdhsa_float_round_mode_32 0
		.amdhsa_float_round_mode_16_64 0
		.amdhsa_float_denorm_mode_32 3
		.amdhsa_float_denorm_mode_16_64 3
		.amdhsa_dx10_clamp 1
		.amdhsa_ieee_mode 1
		.amdhsa_fp16_overflow 0
		.amdhsa_workgroup_processor_mode 1
		.amdhsa_memory_ordered 1
		.amdhsa_forward_progress 1
		.amdhsa_shared_vgpr_count 0
		.amdhsa_exception_fp_ieee_invalid_op 0
		.amdhsa_exception_fp_denorm_src 0
		.amdhsa_exception_fp_ieee_div_zero 0
		.amdhsa_exception_fp_ieee_overflow 0
		.amdhsa_exception_fp_ieee_underflow 0
		.amdhsa_exception_fp_ieee_inexact 0
		.amdhsa_exception_int_div_zero 0
	.end_amdhsa_kernel
	.section	.text._Z17fused_4bit_kernelIfLi64EEvPT_PKS0_S1_S1_PaS4_fffffflffffff,"axG",@progbits,_Z17fused_4bit_kernelIfLi64EEvPT_PKS0_S1_S1_PaS4_fffffflffffff,comdat
.Lfunc_end0:
	.size	_Z17fused_4bit_kernelIfLi64EEvPT_PKS0_S1_S1_PaS4_fffffflffffff, .Lfunc_end0-_Z17fused_4bit_kernelIfLi64EEvPT_PKS0_S1_S1_PaS4_fffffflffffff
                                        ; -- End function
	.set _Z17fused_4bit_kernelIfLi64EEvPT_PKS0_S1_S1_PaS4_fffffflffffff.num_vgpr, 28
	.set _Z17fused_4bit_kernelIfLi64EEvPT_PKS0_S1_S1_PaS4_fffffflffffff.num_agpr, 0
	.set _Z17fused_4bit_kernelIfLi64EEvPT_PKS0_S1_S1_PaS4_fffffflffffff.numbered_sgpr, 18
	.set _Z17fused_4bit_kernelIfLi64EEvPT_PKS0_S1_S1_PaS4_fffffflffffff.num_named_barrier, 0
	.set _Z17fused_4bit_kernelIfLi64EEvPT_PKS0_S1_S1_PaS4_fffffflffffff.private_seg_size, 0
	.set _Z17fused_4bit_kernelIfLi64EEvPT_PKS0_S1_S1_PaS4_fffffflffffff.uses_vcc, 1
	.set _Z17fused_4bit_kernelIfLi64EEvPT_PKS0_S1_S1_PaS4_fffffflffffff.uses_flat_scratch, 0
	.set _Z17fused_4bit_kernelIfLi64EEvPT_PKS0_S1_S1_PaS4_fffffflffffff.has_dyn_sized_stack, 0
	.set _Z17fused_4bit_kernelIfLi64EEvPT_PKS0_S1_S1_PaS4_fffffflffffff.has_recursion, 0
	.set _Z17fused_4bit_kernelIfLi64EEvPT_PKS0_S1_S1_PaS4_fffffflffffff.has_indirect_call, 0
	.section	.AMDGPU.csdata,"",@progbits
; Kernel info:
; codeLenInByte = 2944
; TotalNumSgprs: 20
; NumVgprs: 28
; ScratchSize: 0
; MemoryBound: 0
; FloatMode: 240
; IeeeMode: 1
; LDSByteSize: 24 bytes/workgroup (compile time only)
; SGPRBlocks: 0
; VGPRBlocks: 3
; NumSGPRsForWavesPerEU: 20
; NumVGPRsForWavesPerEU: 28
; Occupancy: 16
; WaveLimiterHint : 0
; COMPUTE_PGM_RSRC2:SCRATCH_EN: 0
; COMPUTE_PGM_RSRC2:USER_SGPR: 6
; COMPUTE_PGM_RSRC2:TRAP_HANDLER: 0
; COMPUTE_PGM_RSRC2:TGID_X_EN: 1
; COMPUTE_PGM_RSRC2:TGID_Y_EN: 0
; COMPUTE_PGM_RSRC2:TGID_Z_EN: 0
; COMPUTE_PGM_RSRC2:TIDIG_COMP_CNT: 0
	.section	.AMDGPU.gpr_maximums,"",@progbits
	.set amdgpu.max_num_vgpr, 0
	.set amdgpu.max_num_agpr, 0
	.set amdgpu.max_num_sgpr, 0
	.section	.AMDGPU.csdata,"",@progbits
	.type	_ZL9_exp_qmap,@object           ; @_ZL9_exp_qmap
	.section	.rodata,"a",@progbits
	.p2align	4, 0x0
_ZL9_exp_qmap:
	.long	0xbf633333                      ; float -0.887499988
	.long	0xbf29999a                      ; float -0.662500024
	;; [unrolled: 1-line block ×7, first 2 shown]
	.long	0x00000000                      ; float 0
	.long	0x3bb43958                      ; float 0.00549999997
	.long	0x3d051eb8                      ; float 0.0324999988
	;; [unrolled: 1-line block ×7, first 2 shown]
	.long	0x3f800000                      ; float 1
	.size	_ZL9_exp_qmap, 64

	.type	_ZL8_sq_qmap,@object            ; @_ZL8_sq_qmap
	.p2align	4, 0x0
_ZL8_sq_qmap:
	.long	0x3d800000                      ; float 0.0625
	.long	0x3e000000                      ; float 0.125
	.long	0x3e400000                      ; float 0.1875
	.long	0x3e800000                      ; float 0.25
	.long	0x3ea00000                      ; float 0.3125
	.long	0x3ec00000                      ; float 0.375
	.long	0x3ee00000                      ; float 0.4375
	.long	0x3f000000                      ; float 0.5
	.long	0x3f100000                      ; float 0.5625
	.long	0x3f200000                      ; float 0.625
	.long	0x3f300000                      ; float 0.6875
	.long	0x3f400000                      ; float 0.75
	.long	0x3f500000                      ; float 0.8125
	.long	0x3f600000                      ; float 0.875
	.long	0x3f700000                      ; float 0.9375
	.long	0x3f800000                      ; float 1
	.size	_ZL8_sq_qmap, 64

	.type	_ZL11_exp_qmidpt,@object        ; @_ZL11_exp_qmidpt
	.p2align	4, 0x0
_ZL11_exp_qmidpt:
	.long	0xbf466666                      ; float -0.774999976
	.long	0xbf0ccccd                      ; float -0.550000012
	;; [unrolled: 1-line block ×7, first 2 shown]
	.long	0x3b343958                      ; float 0.00274999999
	.long	0x3c9ba5e3                      ; float 0.0189999994
	;; [unrolled: 1-line block ×8, first 2 shown]
	.size	_ZL11_exp_qmidpt, 60

	.type	_ZL10_sq_qmidpt,@object         ; @_ZL10_sq_qmidpt
	.p2align	4, 0x0
_ZL10_sq_qmidpt:
	.long	0x3dc00000                      ; float 0.09375
	.long	0x3e200000                      ; float 0.15625
	;; [unrolled: 1-line block ×15, first 2 shown]
	.size	_ZL10_sq_qmidpt, 60

	.type	__hip_cuid_8b9c8f8efb5c1cc1,@object ; @__hip_cuid_8b9c8f8efb5c1cc1
	.section	.bss,"aw",@nobits
	.globl	__hip_cuid_8b9c8f8efb5c1cc1
__hip_cuid_8b9c8f8efb5c1cc1:
	.byte	0                               ; 0x0
	.size	__hip_cuid_8b9c8f8efb5c1cc1, 1

	.ident	"AMD clang version 22.0.0git (https://github.com/RadeonOpenCompute/llvm-project roc-7.2.4 26084 f58b06dce1f9c15707c5f808fd002e18c2accf7e)"
	.section	".note.GNU-stack","",@progbits
	.addrsig
	.addrsig_sym __hip_cuid_8b9c8f8efb5c1cc1
	.amdgpu_metadata
---
amdhsa.kernels:
  - .args:
      - .address_space:  global
        .offset:         0
        .size:           8
        .value_kind:     global_buffer
      - .actual_access:  read_only
        .address_space:  global
        .offset:         8
        .size:           8
        .value_kind:     global_buffer
      - .address_space:  global
        .offset:         16
        .size:           8
        .value_kind:     global_buffer
      - .address_space:  global
        .offset:         24
        .size:           8
        .value_kind:     global_buffer
      - .address_space:  global
        .offset:         32
        .size:           8
        .value_kind:     global_buffer
      - .address_space:  global
        .offset:         40
        .size:           8
        .value_kind:     global_buffer
      - .offset:         48
        .size:           4
        .value_kind:     by_value
      - .offset:         52
        .size:           4
        .value_kind:     by_value
      - .offset:         56
        .size:           4
        .value_kind:     by_value
      - .offset:         60
        .size:           4
        .value_kind:     by_value
      - .offset:         64
        .size:           4
        .value_kind:     by_value
      - .offset:         68
        .size:           4
        .value_kind:     by_value
      - .offset:         72
        .size:           8
        .value_kind:     by_value
      - .offset:         80
        .size:           4
        .value_kind:     by_value
      - .offset:         84
        .size:           4
        .value_kind:     by_value
      - .offset:         88
        .size:           4
        .value_kind:     by_value
      - .offset:         92
        .size:           4
        .value_kind:     by_value
      - .offset:         96
        .size:           4
        .value_kind:     by_value
      - .offset:         100
        .size:           4
        .value_kind:     by_value
      - .offset:         104
        .size:           4
        .value_kind:     hidden_block_count_x
      - .offset:         108
        .size:           4
        .value_kind:     hidden_block_count_y
      - .offset:         112
        .size:           4
        .value_kind:     hidden_block_count_z
      - .offset:         116
        .size:           2
        .value_kind:     hidden_group_size_x
      - .offset:         118
        .size:           2
        .value_kind:     hidden_group_size_y
      - .offset:         120
        .size:           2
        .value_kind:     hidden_group_size_z
      - .offset:         122
        .size:           2
        .value_kind:     hidden_remainder_x
      - .offset:         124
        .size:           2
        .value_kind:     hidden_remainder_y
      - .offset:         126
        .size:           2
        .value_kind:     hidden_remainder_z
      - .offset:         144
        .size:           8
        .value_kind:     hidden_global_offset_x
      - .offset:         152
        .size:           8
        .value_kind:     hidden_global_offset_y
      - .offset:         160
        .size:           8
        .value_kind:     hidden_global_offset_z
      - .offset:         168
        .size:           2
        .value_kind:     hidden_grid_dims
    .group_segment_fixed_size: 24
    .kernarg_segment_align: 8
    .kernarg_segment_size: 360
    .language:       OpenCL C
    .language_version:
      - 2
      - 0
    .max_flat_workgroup_size: 1024
    .name:           _Z17fused_4bit_kernelIfLi64EEvPT_PKS0_S1_S1_PaS4_fffffflffffff
    .private_segment_fixed_size: 0
    .sgpr_count:     20
    .sgpr_spill_count: 0
    .symbol:         _Z17fused_4bit_kernelIfLi64EEvPT_PKS0_S1_S1_PaS4_fffffflffffff.kd
    .uniform_work_group_size: 1
    .uses_dynamic_stack: false
    .vgpr_count:     28
    .vgpr_spill_count: 0
    .wavefront_size: 32
    .workgroup_processor_mode: 1
amdhsa.target:   amdgcn-amd-amdhsa--gfx1030
amdhsa.version:
  - 1
  - 2
...

	.end_amdgpu_metadata
